;; amdgpu-corpus repo=ROCm/rocFFT kind=compiled arch=gfx1030 opt=O3
	.text
	.amdgcn_target "amdgcn-amd-amdhsa--gfx1030"
	.amdhsa_code_object_version 6
	.protected	fft_rtc_fwd_len286_factors_13_11_2_wgs_52_tpt_26_sp_op_CI_CI_unitstride_sbrr_C2R_dirReg ; -- Begin function fft_rtc_fwd_len286_factors_13_11_2_wgs_52_tpt_26_sp_op_CI_CI_unitstride_sbrr_C2R_dirReg
	.globl	fft_rtc_fwd_len286_factors_13_11_2_wgs_52_tpt_26_sp_op_CI_CI_unitstride_sbrr_C2R_dirReg
	.p2align	8
	.type	fft_rtc_fwd_len286_factors_13_11_2_wgs_52_tpt_26_sp_op_CI_CI_unitstride_sbrr_C2R_dirReg,@function
fft_rtc_fwd_len286_factors_13_11_2_wgs_52_tpt_26_sp_op_CI_CI_unitstride_sbrr_C2R_dirReg: ; @fft_rtc_fwd_len286_factors_13_11_2_wgs_52_tpt_26_sp_op_CI_CI_unitstride_sbrr_C2R_dirReg
; %bb.0:
	s_clause 0x2
	s_load_dwordx4 s[12:15], s[4:5], 0x0
	s_load_dwordx4 s[8:11], s[4:5], 0x58
	;; [unrolled: 1-line block ×3, first 2 shown]
	v_mul_u32_u24_e32 v1, 0x9d9, v0
	v_mov_b32_e32 v3, 0
	v_lshrrev_b32_e32 v7, 16, v1
	v_mov_b32_e32 v1, 0
	v_mov_b32_e32 v6, v3
	v_mov_b32_e32 v2, 0
	v_lshl_add_u32 v5, s6, 1, v7
	s_waitcnt lgkmcnt(0)
	v_cmp_lt_u64_e64 s0, s[14:15], 2
	s_and_b32 vcc_lo, exec_lo, s0
	s_cbranch_vccnz .LBB0_8
; %bb.1:
	s_load_dwordx2 s[0:1], s[4:5], 0x10
	v_mov_b32_e32 v1, 0
	v_mov_b32_e32 v2, 0
	s_add_u32 s2, s18, 8
	s_addc_u32 s3, s19, 0
	s_add_u32 s6, s16, 8
	s_addc_u32 s7, s17, 0
	v_mov_b32_e32 v29, v2
	v_mov_b32_e32 v28, v1
	s_mov_b64 s[22:23], 1
	s_waitcnt lgkmcnt(0)
	s_add_u32 s20, s0, 8
	s_addc_u32 s21, s1, 0
.LBB0_2:                                ; =>This Inner Loop Header: Depth=1
	s_load_dwordx2 s[24:25], s[20:21], 0x0
                                        ; implicit-def: $vgpr30_vgpr31
	s_mov_b32 s0, exec_lo
	s_waitcnt lgkmcnt(0)
	v_or_b32_e32 v4, s25, v6
	v_cmpx_ne_u64_e32 0, v[3:4]
	s_xor_b32 s1, exec_lo, s0
	s_cbranch_execz .LBB0_4
; %bb.3:                                ;   in Loop: Header=BB0_2 Depth=1
	v_cvt_f32_u32_e32 v4, s24
	v_cvt_f32_u32_e32 v8, s25
	s_sub_u32 s0, 0, s24
	s_subb_u32 s26, 0, s25
	v_fmac_f32_e32 v4, 0x4f800000, v8
	v_rcp_f32_e32 v4, v4
	v_mul_f32_e32 v4, 0x5f7ffffc, v4
	v_mul_f32_e32 v8, 0x2f800000, v4
	v_trunc_f32_e32 v8, v8
	v_fmac_f32_e32 v4, 0xcf800000, v8
	v_cvt_u32_f32_e32 v8, v8
	v_cvt_u32_f32_e32 v4, v4
	v_mul_lo_u32 v9, s0, v8
	v_mul_hi_u32 v10, s0, v4
	v_mul_lo_u32 v11, s26, v4
	v_add_nc_u32_e32 v9, v10, v9
	v_mul_lo_u32 v10, s0, v4
	v_add_nc_u32_e32 v9, v9, v11
	v_mul_hi_u32 v11, v4, v10
	v_mul_lo_u32 v12, v4, v9
	v_mul_hi_u32 v13, v4, v9
	v_mul_hi_u32 v14, v8, v10
	v_mul_lo_u32 v10, v8, v10
	v_mul_hi_u32 v15, v8, v9
	v_mul_lo_u32 v9, v8, v9
	v_add_co_u32 v11, vcc_lo, v11, v12
	v_add_co_ci_u32_e32 v12, vcc_lo, 0, v13, vcc_lo
	v_add_co_u32 v10, vcc_lo, v11, v10
	v_add_co_ci_u32_e32 v10, vcc_lo, v12, v14, vcc_lo
	v_add_co_ci_u32_e32 v11, vcc_lo, 0, v15, vcc_lo
	v_add_co_u32 v9, vcc_lo, v10, v9
	v_add_co_ci_u32_e32 v10, vcc_lo, 0, v11, vcc_lo
	v_add_co_u32 v4, vcc_lo, v4, v9
	v_add_co_ci_u32_e32 v8, vcc_lo, v8, v10, vcc_lo
	v_mul_hi_u32 v9, s0, v4
	v_mul_lo_u32 v11, s26, v4
	v_mul_lo_u32 v10, s0, v8
	v_add_nc_u32_e32 v9, v9, v10
	v_mul_lo_u32 v10, s0, v4
	v_add_nc_u32_e32 v9, v9, v11
	v_mul_hi_u32 v11, v4, v10
	v_mul_lo_u32 v12, v4, v9
	v_mul_hi_u32 v13, v4, v9
	v_mul_hi_u32 v14, v8, v10
	v_mul_lo_u32 v10, v8, v10
	v_mul_hi_u32 v15, v8, v9
	v_mul_lo_u32 v9, v8, v9
	v_add_co_u32 v11, vcc_lo, v11, v12
	v_add_co_ci_u32_e32 v12, vcc_lo, 0, v13, vcc_lo
	v_add_co_u32 v10, vcc_lo, v11, v10
	v_add_co_ci_u32_e32 v10, vcc_lo, v12, v14, vcc_lo
	v_add_co_ci_u32_e32 v11, vcc_lo, 0, v15, vcc_lo
	v_add_co_u32 v9, vcc_lo, v10, v9
	v_add_co_ci_u32_e32 v10, vcc_lo, 0, v11, vcc_lo
	v_add_co_u32 v4, vcc_lo, v4, v9
	v_add_co_ci_u32_e32 v12, vcc_lo, v8, v10, vcc_lo
	v_mul_hi_u32 v14, v5, v4
	v_mad_u64_u32 v[10:11], null, v6, v4, 0
	v_mad_u64_u32 v[8:9], null, v5, v12, 0
	v_mad_u64_u32 v[12:13], null, v6, v12, 0
	v_add_co_u32 v4, vcc_lo, v14, v8
	v_add_co_ci_u32_e32 v8, vcc_lo, 0, v9, vcc_lo
	v_add_co_u32 v4, vcc_lo, v4, v10
	v_add_co_ci_u32_e32 v4, vcc_lo, v8, v11, vcc_lo
	v_add_co_ci_u32_e32 v8, vcc_lo, 0, v13, vcc_lo
	v_add_co_u32 v4, vcc_lo, v4, v12
	v_add_co_ci_u32_e32 v10, vcc_lo, 0, v8, vcc_lo
	v_mul_lo_u32 v11, s25, v4
	v_mad_u64_u32 v[8:9], null, s24, v4, 0
	v_mul_lo_u32 v12, s24, v10
	v_sub_co_u32 v8, vcc_lo, v5, v8
	v_add3_u32 v9, v9, v12, v11
	v_sub_nc_u32_e32 v11, v6, v9
	v_subrev_co_ci_u32_e64 v11, s0, s25, v11, vcc_lo
	v_add_co_u32 v12, s0, v4, 2
	v_add_co_ci_u32_e64 v13, s0, 0, v10, s0
	v_sub_co_u32 v14, s0, v8, s24
	v_sub_co_ci_u32_e32 v9, vcc_lo, v6, v9, vcc_lo
	v_subrev_co_ci_u32_e64 v11, s0, 0, v11, s0
	v_cmp_le_u32_e32 vcc_lo, s24, v14
	v_cmp_eq_u32_e64 s0, s25, v9
	v_cndmask_b32_e64 v14, 0, -1, vcc_lo
	v_cmp_le_u32_e32 vcc_lo, s25, v11
	v_cndmask_b32_e64 v15, 0, -1, vcc_lo
	v_cmp_le_u32_e32 vcc_lo, s24, v8
	;; [unrolled: 2-line block ×3, first 2 shown]
	v_cndmask_b32_e64 v16, 0, -1, vcc_lo
	v_cmp_eq_u32_e32 vcc_lo, s25, v11
	v_cndmask_b32_e64 v8, v16, v8, s0
	v_cndmask_b32_e32 v11, v15, v14, vcc_lo
	v_add_co_u32 v14, vcc_lo, v4, 1
	v_add_co_ci_u32_e32 v15, vcc_lo, 0, v10, vcc_lo
	v_cmp_ne_u32_e32 vcc_lo, 0, v11
	v_cndmask_b32_e32 v9, v15, v13, vcc_lo
	v_cndmask_b32_e32 v11, v14, v12, vcc_lo
	v_cmp_ne_u32_e32 vcc_lo, 0, v8
	v_cndmask_b32_e32 v31, v10, v9, vcc_lo
	v_cndmask_b32_e32 v30, v4, v11, vcc_lo
.LBB0_4:                                ;   in Loop: Header=BB0_2 Depth=1
	s_andn2_saveexec_b32 s0, s1
	s_cbranch_execz .LBB0_6
; %bb.5:                                ;   in Loop: Header=BB0_2 Depth=1
	v_cvt_f32_u32_e32 v4, s24
	s_sub_i32 s1, 0, s24
	v_mov_b32_e32 v31, v3
	v_rcp_iflag_f32_e32 v4, v4
	v_mul_f32_e32 v4, 0x4f7ffffe, v4
	v_cvt_u32_f32_e32 v4, v4
	v_mul_lo_u32 v8, s1, v4
	v_mul_hi_u32 v8, v4, v8
	v_add_nc_u32_e32 v4, v4, v8
	v_mul_hi_u32 v4, v5, v4
	v_mul_lo_u32 v8, v4, s24
	v_add_nc_u32_e32 v9, 1, v4
	v_sub_nc_u32_e32 v8, v5, v8
	v_subrev_nc_u32_e32 v10, s24, v8
	v_cmp_le_u32_e32 vcc_lo, s24, v8
	v_cndmask_b32_e32 v8, v8, v10, vcc_lo
	v_cndmask_b32_e32 v4, v4, v9, vcc_lo
	v_cmp_le_u32_e32 vcc_lo, s24, v8
	v_add_nc_u32_e32 v9, 1, v4
	v_cndmask_b32_e32 v30, v4, v9, vcc_lo
.LBB0_6:                                ;   in Loop: Header=BB0_2 Depth=1
	s_or_b32 exec_lo, exec_lo, s0
	v_mul_lo_u32 v4, v31, s24
	v_mul_lo_u32 v10, v30, s25
	s_load_dwordx2 s[0:1], s[6:7], 0x0
	v_mad_u64_u32 v[8:9], null, v30, s24, 0
	s_load_dwordx2 s[24:25], s[2:3], 0x0
	s_add_u32 s22, s22, 1
	s_addc_u32 s23, s23, 0
	s_add_u32 s2, s2, 8
	s_addc_u32 s3, s3, 0
	s_add_u32 s6, s6, 8
	v_add3_u32 v4, v9, v10, v4
	v_sub_co_u32 v5, vcc_lo, v5, v8
	s_addc_u32 s7, s7, 0
	s_add_u32 s20, s20, 8
	v_sub_co_ci_u32_e32 v4, vcc_lo, v6, v4, vcc_lo
	s_addc_u32 s21, s21, 0
	s_waitcnt lgkmcnt(0)
	v_mul_lo_u32 v6, s0, v4
	v_mul_lo_u32 v8, s1, v5
	v_mad_u64_u32 v[1:2], null, s0, v5, v[1:2]
	v_mul_lo_u32 v4, s24, v4
	v_mul_lo_u32 v9, s25, v5
	v_mad_u64_u32 v[28:29], null, s24, v5, v[28:29]
	v_cmp_ge_u64_e64 s0, s[22:23], s[14:15]
	v_add3_u32 v2, v8, v2, v6
	v_add3_u32 v29, v9, v29, v4
	s_and_b32 vcc_lo, exec_lo, s0
	s_cbranch_vccnz .LBB0_9
; %bb.7:                                ;   in Loop: Header=BB0_2 Depth=1
	v_mov_b32_e32 v5, v30
	v_mov_b32_e32 v6, v31
	s_branch .LBB0_2
.LBB0_8:
	v_mov_b32_e32 v29, v2
	v_mov_b32_e32 v31, v6
	;; [unrolled: 1-line block ×4, first 2 shown]
.LBB0_9:
	s_load_dwordx2 s[0:1], s[4:5], 0x28
	v_and_b32_e32 v3, 1, v7
	v_mul_hi_u32 v6, 0x9d89d8a, v0
	s_lshl_b64 s[4:5], s[14:15], 3
                                        ; implicit-def: $vgpr32
	s_add_u32 s2, s18, s4
	s_addc_u32 s3, s19, s5
	s_waitcnt lgkmcnt(0)
	v_cmp_gt_u64_e32 vcc_lo, s[0:1], v[30:31]
	v_cmp_le_u64_e64 s1, s[0:1], v[30:31]
	v_cmp_eq_u32_e64 s0, 1, v3
                                        ; implicit-def: $vgpr3_vgpr4
	s_and_saveexec_b32 s6, s1
	s_xor_b32 s1, exec_lo, s6
; %bb.10:
	v_mul_u32_u24_e32 v1, 26, v6
	v_mov_b32_e32 v33, 0
                                        ; implicit-def: $vgpr6
	v_sub_nc_u32_e32 v32, v0, v1
                                        ; implicit-def: $vgpr0
                                        ; implicit-def: $vgpr1_vgpr2
	v_mov_b32_e32 v3, v32
	v_mov_b32_e32 v4, v33
; %bb.11:
	s_or_saveexec_b32 s1, s1
	s_load_dwordx2 s[2:3], s[2:3], 0x0
	v_cndmask_b32_e64 v5, 0, 0x11f, s0
	v_lshlrev_b32_e32 v41, 3, v5
	s_xor_b32 exec_lo, exec_lo, s1
	s_cbranch_execz .LBB0_15
; %bb.12:
	s_add_u32 s4, s16, s4
	s_addc_u32 s5, s17, s5
	v_mul_u32_u24_e32 v6, 26, v6
	s_load_dwordx2 s[4:5], s[4:5], 0x0
	v_lshlrev_b64 v[1:2], 3, v[1:2]
	v_mov_b32_e32 v33, 0
	v_sub_nc_u32_e32 v32, v0, v6
	s_waitcnt lgkmcnt(0)
	v_mul_lo_u32 v7, s5, v30
	v_mul_lo_u32 v8, s4, v31
	v_mad_u64_u32 v[3:4], null, s4, v30, 0
	s_mov_b32 s4, exec_lo
	v_add3_u32 v4, v4, v8, v7
	v_lshlrev_b64 v[3:4], 3, v[3:4]
	v_add_co_u32 v0, s0, s8, v3
	v_add_co_ci_u32_e64 v3, s0, s9, v4, s0
	v_lshlrev_b32_e32 v4, 3, v32
	v_add_co_u32 v0, s0, v0, v1
	v_add_co_ci_u32_e64 v1, s0, v3, v2, s0
	v_add_co_u32 v2, s0, v0, v4
	v_add_co_ci_u32_e64 v3, s0, 0, v1, s0
	s_clause 0x3
	global_load_dwordx2 v[6:7], v[2:3], off
	global_load_dwordx2 v[8:9], v[2:3], off offset:208
	global_load_dwordx2 v[10:11], v[2:3], off offset:416
	;; [unrolled: 1-line block ×3, first 2 shown]
	v_add_co_u32 v14, s0, 0x800, v2
	v_add_co_ci_u32_e64 v15, s0, 0, v3, s0
	s_clause 0x6
	global_load_dwordx2 v[16:17], v[2:3], off offset:832
	global_load_dwordx2 v[18:19], v[2:3], off offset:1040
	;; [unrolled: 1-line block ×7, first 2 shown]
	v_add3_u32 v2, 0, v41, v4
	v_mov_b32_e32 v3, v32
	v_mov_b32_e32 v4, v33
	s_waitcnt vmcnt(9)
	ds_write2_b64 v2, v[6:7], v[8:9] offset1:26
	s_waitcnt vmcnt(7)
	ds_write2_b64 v2, v[10:11], v[12:13] offset0:52 offset1:78
	s_waitcnt vmcnt(5)
	ds_write2_b64 v2, v[16:17], v[18:19] offset0:104 offset1:130
	;; [unrolled: 2-line block ×4, first 2 shown]
	s_waitcnt vmcnt(0)
	ds_write_b64 v2, v[14:15] offset:2080
	v_cmpx_eq_u32_e32 25, v32
	s_cbranch_execz .LBB0_14
; %bb.13:
	v_add_co_u32 v0, s0, 0x800, v0
	v_add_co_ci_u32_e64 v1, s0, 0, v1, s0
	v_mov_b32_e32 v3, 25
	v_mov_b32_e32 v4, 0
	;; [unrolled: 1-line block ×3, first 2 shown]
	global_load_dwordx2 v[0:1], v[0:1], off offset:240
	s_waitcnt vmcnt(0)
	ds_write_b64 v2, v[0:1] offset:2088
.LBB0_14:
	s_or_b32 exec_lo, exec_lo, s4
.LBB0_15:
	s_or_b32 exec_lo, exec_lo, s1
	v_lshl_add_u32 v38, v5, 3, 0
	v_lshlrev_b32_e32 v0, 3, v32
	s_waitcnt lgkmcnt(0)
	s_barrier
	buffer_gl0_inv
	v_lshlrev_b64 v[34:35], 3, v[3:4]
	v_add_nc_u32_e32 v39, v38, v0
	v_sub_nc_u32_e32 v2, v38, v0
	s_add_u32 s1, s12, 0x888
	s_addc_u32 s4, s13, 0
	ds_read_b32 v1, v39
	ds_read_b32 v6, v2 offset:2288
	s_mov_b32 s5, exec_lo
	s_waitcnt lgkmcnt(0)
	v_add_f32_e32 v0, v6, v1
	v_sub_f32_e32 v1, v1, v6
	v_cmpx_ne_u32_e32 0, v32
	s_xor_b32 s5, exec_lo, s5
	s_cbranch_execz .LBB0_17
; %bb.16:
	v_add_co_u32 v3, s0, s1, v34
	v_add_co_ci_u32_e64 v4, s0, s4, v35, s0
	global_load_dwordx2 v[3:4], v[3:4], off
	ds_read_b32 v6, v2 offset:2292
	ds_read_b32 v7, v39 offset:4
	s_waitcnt lgkmcnt(0)
	v_add_f32_e32 v10, v6, v7
	v_sub_f32_e32 v6, v7, v6
	s_waitcnt vmcnt(0)
	v_fma_f32 v11, v1, v4, v0
	v_fma_f32 v7, v10, v4, v6
	v_fma_f32 v8, -v1, v4, v0
	v_fma_f32 v9, v10, v4, -v6
                                        ; implicit-def: $vgpr0
	v_fma_f32 v6, -v3, v10, v11
	v_fmac_f32_e32 v7, v1, v3
	v_fmac_f32_e32 v8, v3, v10
	;; [unrolled: 1-line block ×3, first 2 shown]
	ds_write_b64 v39, v[6:7]
	ds_write_b64 v2, v[8:9] offset:2288
.LBB0_17:
	s_andn2_saveexec_b32 s0, s5
	s_cbranch_execz .LBB0_19
; %bb.18:
	ds_write_b64 v39, v[0:1]
	ds_read_b64 v[0:1], v38 offset:1144
	s_waitcnt lgkmcnt(0)
	v_add_f32_e32 v0, v0, v0
	v_mul_f32_e32 v1, -2.0, v1
	ds_write_b64 v38, v[0:1] offset:1144
.LBB0_19:
	s_or_b32 exec_lo, exec_lo, s0
	v_mov_b32_e32 v33, 0
	v_lshlrev_b64 v[36:37], 3, v[32:33]
	v_add_co_u32 v0, s0, s1, v36
	v_add_co_ci_u32_e64 v1, s0, s4, v37, s0
	v_cmp_gt_u32_e64 s0, 13, v32
	s_clause 0x3
	global_load_dwordx2 v[3:4], v[0:1], off offset:208
	global_load_dwordx2 v[6:7], v[0:1], off offset:416
	;; [unrolled: 1-line block ×4, first 2 shown]
	ds_read_b64 v[12:13], v39 offset:208
	ds_read_b64 v[14:15], v2 offset:2080
	s_waitcnt lgkmcnt(0)
	v_add_f32_e32 v16, v12, v14
	v_add_f32_e32 v17, v15, v13
	v_sub_f32_e32 v18, v12, v14
	v_sub_f32_e32 v12, v13, v15
	s_waitcnt vmcnt(3)
	v_fma_f32 v19, v18, v4, v16
	v_fma_f32 v13, v17, v4, v12
	v_fma_f32 v14, -v18, v4, v16
	v_fma_f32 v15, v17, v4, -v12
	v_fma_f32 v12, -v3, v17, v19
	v_fmac_f32_e32 v13, v18, v3
	v_fmac_f32_e32 v14, v3, v17
	v_fmac_f32_e32 v15, v18, v3
	ds_write_b64 v39, v[12:13] offset:208
	ds_write_b64 v2, v[14:15] offset:2080
	ds_read_b64 v[3:4], v39 offset:416
	ds_read_b64 v[12:13], v2 offset:1872
	s_waitcnt lgkmcnt(0)
	v_add_f32_e32 v14, v3, v12
	v_add_f32_e32 v15, v13, v4
	v_sub_f32_e32 v16, v3, v12
	v_sub_f32_e32 v3, v4, v13
	s_waitcnt vmcnt(2)
	v_fma_f32 v17, v16, v7, v14
	v_fma_f32 v4, v15, v7, v3
	v_fma_f32 v12, -v16, v7, v14
	v_fma_f32 v13, v15, v7, -v3
	v_fma_f32 v3, -v6, v15, v17
	v_fmac_f32_e32 v4, v16, v6
	v_fmac_f32_e32 v12, v6, v15
	v_fmac_f32_e32 v13, v16, v6
	ds_write_b64 v39, v[3:4] offset:416
	ds_write_b64 v2, v[12:13] offset:1872
	;; [unrolled: 18-line block ×4, first 2 shown]
	s_and_saveexec_b32 s1, s0
	s_cbranch_execz .LBB0_21
; %bb.20:
	global_load_dwordx2 v[0:1], v[0:1], off offset:1040
	ds_read_b64 v[3:4], v39 offset:1040
	ds_read_b64 v[6:7], v2 offset:1248
	s_waitcnt lgkmcnt(0)
	v_add_f32_e32 v8, v3, v6
	v_add_f32_e32 v9, v7, v4
	v_sub_f32_e32 v10, v3, v6
	v_sub_f32_e32 v3, v4, v7
	s_waitcnt vmcnt(0)
	v_fma_f32 v11, v10, v1, v8
	v_fma_f32 v4, v9, v1, v3
	v_fma_f32 v6, -v10, v1, v8
	v_fma_f32 v7, v9, v1, -v3
	v_fma_f32 v3, -v0, v9, v11
	v_fmac_f32_e32 v4, v10, v0
	v_fmac_f32_e32 v6, v0, v9
	;; [unrolled: 1-line block ×3, first 2 shown]
	ds_write_b64 v39, v[3:4] offset:1040
	ds_write_b64 v2, v[6:7] offset:1248
.LBB0_21:
	s_or_b32 exec_lo, exec_lo, s1
	v_lshl_add_u32 v33, v32, 3, 0
	s_waitcnt lgkmcnt(0)
	s_barrier
	buffer_gl0_inv
	v_lshl_add_u32 v40, v5, 3, v33
	s_barrier
	buffer_gl0_inv
	s_mov_b32 s4, exec_lo
	ds_read2_b64 v[16:19], v40 offset0:66 offset1:88
	ds_read2_b64 v[8:11], v40 offset0:198 offset1:220
	ds_read2_b64 v[20:23], v40 offset0:110 offset1:132
	ds_read2_b64 v[12:15], v40 offset0:154 offset1:176
	v_add_nc_u32_e32 v42, 0x400, v40
	ds_read2_b64 v[24:27], v40 offset0:22 offset1:44
	ds_read2_b64 v[4:7], v42 offset0:114 offset1:136
	ds_read_b64 v[0:1], v39
	s_waitcnt lgkmcnt(0)
	s_barrier
	buffer_gl0_inv
	v_sub_f32_e32 v57, v16, v10
	v_sub_f32_e32 v55, v17, v11
	v_add_f32_e32 v43, v10, v16
	v_add_f32_e32 v45, v11, v17
	v_sub_f32_e32 v58, v18, v8
	v_sub_f32_e32 v56, v19, v9
	;; [unrolled: 1-line block ×4, first 2 shown]
	v_add_f32_e32 v52, v6, v24
	v_add_f32_e32 v54, v7, v25
	v_sub_f32_e32 v63, v27, v5
	v_sub_f32_e32 v65, v26, v4
	v_mul_f32_e32 v75, 0xbf52af12, v64
	v_mul_f32_e32 v78, 0xbf52af12, v66
	v_add_f32_e32 v50, v4, v26
	v_add_f32_e32 v53, v5, v27
	v_mul_f32_e32 v76, 0xbf6f5d39, v63
	v_fmamk_f32 v2, v52, 0x3f116cb1, v75
	v_mul_f32_e32 v77, 0xbf6f5d39, v65
	v_fma_f32 v3, 0x3f116cb1, v54, -v78
	v_mul_f32_e32 v69, 0xbe750f2a, v55
	v_mul_f32_e32 v73, 0xbe750f2a, v57
	v_fmamk_f32 v51, v50, 0xbeb58ec6, v76
	v_add_f32_e32 v2, v0, v2
	v_fma_f32 v74, 0xbeb58ec6, v53, -v77
	v_add_f32_e32 v3, v1, v3
	v_add_f32_e32 v44, v8, v18
	;; [unrolled: 1-line block ×3, first 2 shown]
	v_sub_f32_e32 v59, v21, v15
	v_sub_f32_e32 v61, v20, v14
	v_mul_f32_e32 v67, 0x3f29c268, v56
	v_mul_f32_e32 v70, 0x3f29c268, v58
	v_fmamk_f32 v71, v43, 0xbf788fa5, v69
	v_add_f32_e32 v2, v51, v2
	v_fma_f32 v51, 0xbf788fa5, v45, -v73
	v_add_f32_e32 v3, v74, v3
	v_add_f32_e32 v47, v14, v20
	;; [unrolled: 1-line block ×3, first 2 shown]
	v_sub_f32_e32 v60, v23, v13
	v_sub_f32_e32 v62, v22, v12
	v_mul_f32_e32 v68, 0x3f7e222b, v59
	v_mul_f32_e32 v72, 0x3f7e222b, v61
	v_fmamk_f32 v79, v44, 0xbf3f9e67, v67
	v_add_f32_e32 v2, v71, v2
	v_fma_f32 v80, 0xbf3f9e67, v46, -v70
	v_add_f32_e32 v3, v51, v3
	v_add_f32_e32 v48, v12, v22
	v_fmamk_f32 v81, v47, 0x3df6dbef, v68
	v_fma_f32 v82, 0x3df6dbef, v49, -v72
	v_add_f32_e32 v2, v79, v2
	v_add_f32_e32 v51, v13, v23
	v_mul_f32_e32 v71, 0x3eedf032, v60
	v_mul_f32_e32 v74, 0x3eedf032, v62
	v_add_f32_e32 v3, v80, v3
	v_add_f32_e32 v2, v81, v2
	v_fmamk_f32 v79, v48, 0x3f62ad3f, v71
	v_fma_f32 v80, 0x3f62ad3f, v51, -v74
	v_add_f32_e32 v3, v82, v3
	v_add_f32_e32 v2, v79, v2
	;; [unrolled: 1-line block ×3, first 2 shown]
	v_cmpx_gt_u32_e32 22, v32
	s_cbranch_execz .LBB0_23
; %bb.22:
	v_mul_f32_e32 v82, 0x3df6dbef, v54
	v_mul_f32_e32 v83, 0xbf788fa5, v53
	;; [unrolled: 1-line block ×5, first 2 shown]
	v_fmamk_f32 v79, v66, 0x3f7e222b, v82
	v_fmamk_f32 v80, v65, 0x3e750f2a, v83
	;; [unrolled: 1-line block ×3, first 2 shown]
	v_mul_f32_e32 v85, 0x3f62ad3f, v46
	v_fmamk_f32 v91, v57, 0xbf6f5d39, v84
	v_add_f32_e32 v79, v1, v79
	v_fmamk_f32 v92, v50, 0xbf788fa5, v89
	v_mul_f32_e32 v86, 0x3f116cb1, v49
	v_mul_f32_e32 v90, 0x3f6f5d39, v55
	v_mul_f32_e32 v93, 0x3eedf032, v56
	v_add_f32_e32 v79, v80, v79
	v_add_f32_e32 v80, v0, v81
	v_fmamk_f32 v81, v58, 0xbeedf032, v85
	v_fmamk_f32 v94, v43, 0xbeb58ec6, v90
	v_mul_f32_e32 v88, 0xbf3f9e67, v51
	v_add_f32_e32 v79, v91, v79
	v_add_f32_e32 v91, v92, v80
	v_mul_f32_e32 v80, 0xbe750f2a, v66
	v_fmamk_f32 v92, v61, 0x3f52af12, v86
	v_fmamk_f32 v95, v44, 0x3f62ad3f, v93
	v_add_f32_e32 v79, v81, v79
	v_mul_f32_e32 v81, 0x3eedf032, v65
	v_fmamk_f32 v96, v54, 0xbf788fa5, v80
	v_add_f32_e32 v91, v94, v91
	v_mul_f32_e32 v94, 0xbf52af12, v59
	v_add_f32_e32 v92, v92, v79
	v_fmamk_f32 v97, v53, 0x3f62ad3f, v81
	v_add_f32_e32 v96, v1, v96
	v_mul_f32_e32 v79, 0xbf29c268, v57
	v_add_f32_e32 v25, v1, v25
	v_add_f32_e32 v24, v0, v24
	v_add_f32_e32 v91, v95, v91
	v_fmamk_f32 v95, v47, 0x3f116cb1, v94
	v_mul_f32_e32 v98, 0xbf29c268, v60
	v_add_f32_e32 v96, v97, v96
	v_fmamk_f32 v97, v45, 0xbf3f9e67, v79
	v_add_f32_e32 v27, v25, v27
	v_add_f32_e32 v26, v24, v26
	v_mul_f32_e32 v99, 0x3f52af12, v58
	v_fmamk_f32 v24, v62, 0x3f29c268, v88
	v_mul_f32_e32 v100, 0xbe750f2a, v64
	v_add_f32_e32 v91, v95, v91
	v_fmamk_f32 v95, v48, 0xbf3f9e67, v98
	v_add_f32_e32 v96, v97, v96
	v_fmamk_f32 v97, v46, 0x3f116cb1, v99
	v_mul_f32_e32 v101, 0xbf6f5d39, v61
	v_add_f32_e32 v25, v24, v92
	v_fma_f32 v92, 0xbf788fa5, v52, -v100
	v_mul_f32_e32 v102, 0x3eedf032, v63
	v_add_f32_e32 v17, v27, v17
	v_add_f32_e32 v16, v26, v16
	;; [unrolled: 1-line block ×4, first 2 shown]
	v_fmamk_f32 v95, v49, 0xbeb58ec6, v101
	v_add_f32_e32 v92, v0, v92
	v_fma_f32 v96, 0x3f62ad3f, v50, -v102
	v_mul_f32_e32 v26, 0xbf29c268, v55
	v_add_f32_e32 v17, v17, v19
	v_add_f32_e32 v16, v16, v18
	;; [unrolled: 1-line block ×4, first 2 shown]
	v_fma_f32 v18, 0xbf3f9e67, v43, -v26
	v_mul_f32_e32 v92, 0x3f52af12, v56
	v_add_f32_e32 v17, v17, v21
	v_add_f32_e32 v16, v16, v20
	v_mul_f32_e32 v95, 0x3f7e222b, v62
	v_add_f32_e32 v18, v18, v91
	v_fma_f32 v19, 0x3f116cb1, v44, -v92
	v_mul_f32_e32 v21, 0xbf29c268, v66
	v_add_f32_e32 v17, v17, v23
	v_add_f32_e32 v16, v16, v22
	v_fmamk_f32 v20, v51, 0x3df6dbef, v95
	v_add_f32_e32 v18, v19, v18
	v_fmamk_f32 v19, v54, 0xbf3f9e67, v21
	v_add_f32_e32 v13, v17, v13
	v_add_f32_e32 v12, v16, v12
	v_mul_f32_e32 v23, 0x3f7e222b, v65
	v_mul_f32_e32 v91, 0xbf52af12, v57
	v_add_f32_e32 v17, v1, v19
	v_add_f32_e32 v13, v13, v15
	;; [unrolled: 1-line block ×3, first 2 shown]
	v_fmamk_f32 v15, v53, 0x3df6dbef, v23
	v_add_f32_e32 v12, v20, v27
	v_mul_f32_e32 v27, 0xbf29c268, v64
	v_add_f32_e32 v9, v13, v9
	v_mul_f32_e32 v97, 0x3f7e222b, v63
	v_add_f32_e32 v15, v15, v17
	v_fmamk_f32 v17, v45, 0x3f116cb1, v91
	v_fma_f32 v13, 0xbf3f9e67, v52, -v27
	v_add_f32_e32 v8, v14, v8
	v_mul_f32_e32 v103, 0x3e750f2a, v58
	v_mul_f32_e32 v104, 0xbf52af12, v55
	v_add_f32_e32 v14, v17, v15
	v_add_f32_e32 v13, v0, v13
	v_fma_f32 v15, 0x3df6dbef, v50, -v97
	v_add_f32_e32 v105, v9, v11
	v_fmamk_f32 v9, v46, 0xbf788fa5, v103
	v_mul_f32_e32 v106, 0x3eedf032, v61
	v_mul_f32_e32 v107, 0x3e750f2a, v56
	v_add_f32_e32 v11, v15, v13
	v_fma_f32 v13, 0x3f116cb1, v43, -v104
	v_mul_f32_e32 v22, 0xbf6f5d39, v59
	v_add_f32_e32 v10, v8, v10
	v_add_f32_e32 v8, v9, v14
	v_fmamk_f32 v9, v49, 0x3f62ad3f, v106
	v_add_f32_e32 v11, v13, v11
	v_fma_f32 v13, 0xbf788fa5, v44, -v107
	v_mul_f32_e32 v108, 0x3eedf032, v59
	v_mul_f32_e32 v109, 0xbf6f5d39, v62
	;; [unrolled: 1-line block ×3, first 2 shown]
	v_fma_f32 v16, 0xbeb58ec6, v47, -v22
	v_mul_f32_e32 v96, 0x3f7e222b, v60
	v_add_f32_e32 v8, v9, v8
	v_add_f32_e32 v9, v13, v11
	v_fma_f32 v13, 0x3f62ad3f, v47, -v108
	v_fmamk_f32 v14, v51, 0xbeb58ec6, v109
	v_fmamk_f32 v15, v54, 0xbeb58ec6, v110
	v_mul_f32_e32 v111, 0x3f29c268, v65
	v_mul_f32_e32 v112, 0xbf6f5d39, v64
	v_add_f32_e32 v16, v16, v18
	v_fma_f32 v18, 0x3df6dbef, v48, -v96
	v_add_f32_e32 v13, v13, v9
	v_add_f32_e32 v9, v14, v8
	;; [unrolled: 1-line block ×3, first 2 shown]
	v_fmamk_f32 v14, v53, 0xbf3f9e67, v111
	v_mul_f32_e32 v113, 0x3eedf032, v57
	v_fma_f32 v15, 0xbeb58ec6, v52, -v112
	v_mul_f32_e32 v115, 0x3f29c268, v63
	v_add_f32_e32 v11, v18, v16
	v_mul_f32_e32 v114, 0xbf6f5d39, v60
	v_add_f32_e32 v8, v14, v8
	v_fmamk_f32 v14, v45, 0x3f62ad3f, v113
	v_mul_f32_e32 v116, 0xbf7e222b, v58
	v_add_f32_e32 v15, v0, v15
	v_fma_f32 v16, 0xbf3f9e67, v50, -v115
	v_mul_f32_e32 v117, 0x3eedf032, v55
	v_fma_f32 v17, 0xbeb58ec6, v48, -v114
	v_add_f32_e32 v14, v14, v8
	v_fmamk_f32 v18, v46, 0x3df6dbef, v116
	v_add_f32_e32 v15, v16, v15
	v_fma_f32 v16, 0x3f62ad3f, v43, -v117
	v_mul_f32_e32 v118, 0xbf7e222b, v56
	v_add_f32_e32 v8, v17, v13
	v_mul_f32_e32 v119, 0x3e750f2a, v61
	v_add_f32_e32 v13, v18, v14
	v_add_f32_e32 v14, v16, v15
	v_fma_f32 v15, 0x3df6dbef, v44, -v118
	v_fmac_f32_e32 v82, 0xbf7e222b, v66
	v_mul_f32_e32 v120, 0x3e750f2a, v59
	v_fma_f32 v17, 0x3df6dbef, v52, -v87
	v_fmamk_f32 v16, v49, 0xbf788fa5, v119
	v_add_f32_e32 v14, v15, v14
	v_add_f32_e32 v15, v1, v82
	v_fmac_f32_e32 v83, 0xbe750f2a, v65
	v_fma_f32 v18, 0xbf788fa5, v47, -v120
	v_add_f32_e32 v17, v0, v17
	v_fma_f32 v19, 0xbf788fa5, v50, -v89
	v_add_f32_e32 v13, v16, v13
	v_add_f32_e32 v15, v83, v15
	v_fmac_f32_e32 v84, 0x3f6f5d39, v57
	v_add_f32_e32 v16, v18, v14
	v_add_f32_e32 v14, v19, v17
	v_fma_f32 v17, 0xbeb58ec6, v43, -v90
	v_mul_f32_e32 v82, 0x3f52af12, v62
	v_add_f32_e32 v15, v84, v15
	v_fmac_f32_e32 v85, 0x3eedf032, v58
	v_mul_f32_e32 v83, 0x3f52af12, v60
	v_add_f32_e32 v14, v17, v14
	v_fma_f32 v17, 0x3f62ad3f, v44, -v93
	v_fmamk_f32 v18, v51, 0x3f116cb1, v82
	v_add_f32_e32 v15, v85, v15
	v_fmac_f32_e32 v86, 0xbf52af12, v61
	v_fma_f32 v19, 0x3f116cb1, v48, -v83
	v_add_f32_e32 v17, v17, v14
	v_fma_f32 v20, 0x3f116cb1, v47, -v94
	v_add_f32_e32 v14, v18, v13
	v_add_f32_e32 v15, v86, v15
	v_fmac_f32_e32 v88, 0xbf29c268, v62
	v_add_f32_e32 v13, v19, v16
	v_add_f32_e32 v17, v20, v17
	v_mul_f32_e32 v18, 0x3f116cb1, v54
	v_fma_f32 v19, 0xbf3f9e67, v48, -v98
	v_mul_f32_e32 v20, 0x3f116cb1, v52
	v_add_f32_e32 v16, v88, v15
	v_mul_f32_e32 v84, 0xbeb58ec6, v53
	v_add_f32_e32 v18, v78, v18
	v_add_f32_e32 v15, v19, v17
	v_mul_f32_e32 v17, 0xbeb58ec6, v50
	v_sub_f32_e32 v19, v20, v75
	v_add_f32_e32 v20, v77, v84
	v_add_f32_e32 v18, v1, v18
	v_mul_f32_e32 v75, 0xbf788fa5, v45
	v_sub_f32_e32 v17, v17, v76
	v_add_f32_e32 v19, v0, v19
	v_mul_f32_e32 v76, 0xbf788fa5, v43
	v_add_f32_e32 v18, v20, v18
	v_add_f32_e32 v20, v73, v75
	v_mul_f32_e32 v73, 0xbf3f9e67, v46
	v_add_f32_e32 v17, v17, v19
	v_sub_f32_e32 v19, v76, v69
	v_mul_f32_e32 v69, 0xbf3f9e67, v44
	v_add_f32_e32 v18, v20, v18
	v_add_f32_e32 v20, v70, v73
	v_mul_f32_e32 v70, 0x3df6dbef, v49
	v_add_f32_e32 v17, v19, v17
	v_sub_f32_e32 v19, v69, v67
	;; [unrolled: 6-line block ×3, first 2 shown]
	v_mul_f32_e32 v66, 0xbeedf032, v66
	v_add_f32_e32 v18, v20, v18
	v_add_f32_e32 v20, v74, v69
	v_mul_f32_e32 v67, 0x3f62ad3f, v48
	v_add_f32_e32 v17, v19, v17
	v_fmamk_f32 v19, v54, 0x3f62ad3f, v66
	v_mul_f32_e32 v65, 0xbf52af12, v65
	v_add_f32_e32 v18, v20, v18
	v_sub_f32_e32 v20, v67, v71
	v_mul_f32_e32 v64, 0xbeedf032, v64
	v_add_f32_e32 v19, v1, v19
	v_fmamk_f32 v67, v53, 0x3f116cb1, v65
	v_mul_f32_e32 v57, 0xbf7e222b, v57
	v_add_f32_e32 v17, v20, v17
	v_fma_f32 v20, 0x3f62ad3f, v52, -v64
	v_mul_f32_e32 v63, 0xbf52af12, v63
	v_add_f32_e32 v19, v67, v19
	v_fmamk_f32 v67, v45, 0x3df6dbef, v57
	v_mul_f32_e32 v58, 0xbf6f5d39, v58
	v_add_f32_e32 v20, v0, v20
	v_fma_f32 v68, 0x3f116cb1, v50, -v63
	;; [unrolled: 6-line block ×4, first 2 shown]
	v_mul_f32_e32 v59, 0xbf29c268, v59
	v_add_f32_e32 v19, v67, v19
	v_fma_f32 v67, 0xbf788fa5, v54, -v80
	v_fmamk_f32 v69, v51, 0xbf788fa5, v62
	v_add_f32_e32 v68, v68, v20
	v_fma_f32 v70, 0xbf3f9e67, v47, -v59
	v_mul_f32_e32 v60, 0xbe750f2a, v60
	v_add_f32_e32 v67, v1, v67
	v_fma_f32 v71, 0x3f62ad3f, v53, -v81
	v_fmac_f32_e32 v100, 0xbf788fa5, v52
	v_add_f32_e32 v20, v69, v19
	v_add_f32_e32 v19, v70, v68
	v_fma_f32 v68, 0xbf788fa5, v48, -v60
	v_add_f32_e32 v67, v71, v67
	v_fma_f32 v69, 0xbf3f9e67, v45, -v79
	v_add_f32_e32 v70, v0, v100
	v_fmac_f32_e32 v102, 0x3f62ad3f, v50
	v_add_f32_e32 v19, v68, v19
	v_add_f32_e32 v5, v105, v5
	;; [unrolled: 1-line block ×3, first 2 shown]
	v_fma_f32 v68, 0x3f116cb1, v46, -v99
	v_add_f32_e32 v69, v102, v70
	v_fmac_f32_e32 v26, 0xbf3f9e67, v43
	v_add_f32_e32 v5, v5, v7
	v_add_f32_e32 v4, v10, v4
	;; [unrolled: 1-line block ×3, first 2 shown]
	v_fma_f32 v10, 0xbeb58ec6, v49, -v101
	v_add_f32_e32 v26, v26, v69
	v_fmac_f32_e32 v92, 0x3f116cb1, v44
	v_add_f32_e32 v4, v4, v6
	v_fma_f32 v6, 0xbf3f9e67, v54, -v21
	v_add_f32_e32 v7, v10, v7
	v_fma_f32 v10, 0x3df6dbef, v51, -v95
	v_add_f32_e32 v21, v92, v26
	v_fmac_f32_e32 v22, 0xbeb58ec6, v47
	v_add_f32_e32 v6, v1, v6
	v_fma_f32 v23, 0x3df6dbef, v53, -v23
	v_add_f32_e32 v7, v10, v7
	v_fmac_f32_e32 v27, 0xbf3f9e67, v52
	v_add_f32_e32 v10, v22, v21
	v_fmac_f32_e32 v96, 0x3df6dbef, v48
	v_add_f32_e32 v21, v23, v6
	v_fma_f32 v22, 0x3f116cb1, v45, -v91
	v_add_f32_e32 v23, v0, v27
	v_fmac_f32_e32 v97, 0x3df6dbef, v50
	v_add_f32_e32 v6, v96, v10
	v_fma_f32 v10, 0xbeb58ec6, v54, -v110
	v_add_f32_e32 v21, v22, v21
	v_fma_f32 v22, 0xbf788fa5, v46, -v103
	v_add_f32_e32 v23, v97, v23
	v_fmac_f32_e32 v104, 0x3f116cb1, v43
	v_add_f32_e32 v10, v1, v10
	v_fma_f32 v26, 0xbf3f9e67, v53, -v111
	;; [unrolled: 6-line block ×4, first 2 shown]
	v_fmac_f32_e32 v112, 0xbeb58ec6, v52
	v_add_f32_e32 v22, v22, v21
	v_add_f32_e32 v21, v108, v23
	v_fma_f32 v23, 0xbf788fa5, v49, -v119
	v_add_f32_e32 v10, v26, v10
	v_add_f32_e32 v26, v0, v112
	v_fmac_f32_e32 v115, 0xbf3f9e67, v50
	v_fma_f32 v27, 0x3f62ad3f, v54, -v66
	v_fmac_f32_e32 v64, 0x3f62ad3f, v52
	v_add_f32_e32 v10, v23, v10
	v_fmac_f32_e32 v63, 0x3f116cb1, v50
	v_add_f32_e32 v23, v115, v26
	v_add_f32_e32 v1, v1, v27
	v_fma_f32 v26, 0x3f116cb1, v53, -v65
	v_add_f32_e32 v0, v0, v64
	v_fmac_f32_e32 v117, 0x3f62ad3f, v43
	v_fmac_f32_e32 v55, 0x3df6dbef, v43
	;; [unrolled: 1-line block ×3, first 2 shown]
	v_add_f32_e32 v1, v26, v1
	v_fma_f32 v26, 0x3df6dbef, v45, -v57
	v_add_f32_e32 v0, v63, v0
	v_add_f32_e32 v23, v117, v23
	v_fmac_f32_e32 v56, 0xbeb58ec6, v44
	v_fmac_f32_e32 v120, 0xbf788fa5, v47
	v_add_f32_e32 v1, v26, v1
	v_fma_f32 v26, 0xbeb58ec6, v46, -v58
	v_add_f32_e32 v0, v55, v0
	v_add_f32_e32 v23, v118, v23
	v_fmac_f32_e32 v59, 0xbf3f9e67, v47
	v_mul_u32_u24_e32 v43, 0x60, v32
	v_add_f32_e32 v1, v26, v1
	v_fma_f32 v26, 0xbf3f9e67, v49, -v61
	v_add_f32_e32 v0, v56, v0
	v_fmac_f32_e32 v114, 0xbeb58ec6, v48
	v_fma_f32 v27, 0x3f116cb1, v51, -v82
	v_add_f32_e32 v23, v120, v23
	v_fmac_f32_e32 v83, 0x3f116cb1, v48
	v_add_f32_e32 v26, v26, v1
	v_fma_f32 v44, 0xbf788fa5, v51, -v62
	v_add_f32_e32 v45, v59, v0
	v_fmac_f32_e32 v60, 0xbf788fa5, v48
	v_add3_u32 v33, v33, v43, v41
	v_add_f32_e32 v21, v114, v21
	v_add_f32_e32 v1, v27, v10
	v_add_f32_e32 v0, v83, v23
	v_add_f32_e32 v27, v44, v26
	v_add_f32_e32 v26, v60, v45
	ds_write2_b64 v33, v[4:5], v[19:20] offset1:1
	ds_write2_b64 v33, v[17:18], v[15:16] offset0:2 offset1:3
	ds_write2_b64 v33, v[13:14], v[8:9] offset0:4 offset1:5
	;; [unrolled: 1-line block ×5, first 2 shown]
	ds_write_b64 v33, v[26:27] offset:96
.LBB0_23:
	s_or_b32 exec_lo, exec_lo, s4
	v_add_nc_u32_e32 v33, -13, v32
	v_mov_b32_e32 v1, 0
	s_waitcnt lgkmcnt(0)
	s_barrier
	buffer_gl0_inv
	v_cndmask_b32_e64 v51, v33, v32, s0
	v_mul_i32_i24_e32 v0, 10, v51
	v_lshlrev_b32_e32 v59, 3, v51
	v_lshlrev_b64 v[0:1], 3, v[0:1]
	v_add_co_u32 v0, s1, s12, v0
	v_add_co_ci_u32_e64 v1, s1, s13, v1, s1
	v_cmp_lt_u32_e64 s1, 12, v32
	s_clause 0x4
	global_load_dwordx4 v[16:19], v[0:1], off
	global_load_dwordx4 v[12:15], v[0:1], off offset:16
	global_load_dwordx4 v[8:11], v[0:1], off offset:32
	;; [unrolled: 1-line block ×4, first 2 shown]
	ds_read2_b64 v[24:27], v40 offset0:26 offset1:52
	ds_read2_b64 v[43:46], v40 offset0:78 offset1:104
	v_cndmask_b32_e64 v0, 0, 0x478, s1
	ds_read2_b32 v[55:56], v42 offset0:4 offset1:5
	ds_read2_b64 v[47:50], v40 offset0:156 offset1:182
	v_add_nc_u32_e32 v42, 0, v0
	ds_read2_b64 v[51:54], v40 offset0:208 offset1:234
	ds_read_b64 v[0:1], v39
	ds_read_b64 v[57:58], v40 offset:2080
	s_waitcnt vmcnt(0) lgkmcnt(0)
	s_barrier
	buffer_gl0_inv
	v_add3_u32 v41, v42, v59, v41
	v_mul_f32_e32 v42, v17, v25
	v_mul_f32_e32 v17, v17, v24
	;; [unrolled: 1-line block ×20, first 2 shown]
	v_fma_f32 v24, v16, v24, -v42
	v_fmac_f32_e32 v17, v16, v25
	v_fma_f32 v16, v18, v26, -v59
	v_fmac_f32_e32 v19, v18, v27
	v_fma_f32 v18, v12, v43, -v60
	v_fmac_f32_e32 v13, v12, v44
	v_fma_f32 v12, v14, v45, -v61
	v_fmac_f32_e32 v15, v14, v46
	v_fma_f32 v14, v8, v55, -v62
	v_fmac_f32_e32 v9, v56, v8
	v_fma_f32 v8, v47, v10, -v63
	v_fmac_f32_e32 v11, v48, v10
	v_fma_f32 v10, v49, v4, -v64
	v_fmac_f32_e32 v5, v50, v4
	v_fma_f32 v4, v51, v6, -v65
	v_fmac_f32_e32 v7, v52, v6
	v_fma_f32 v25, v53, v20, -v66
	v_fma_f32 v26, v57, v22, -v67
	v_fmac_f32_e32 v23, v58, v22
	v_fmac_f32_e32 v21, v54, v20
	v_add_f32_e32 v6, v24, v0
	v_add_f32_e32 v20, v17, v1
	;; [unrolled: 1-line block ×4, first 2 shown]
	v_sub_f32_e32 v24, v24, v26
	v_sub_f32_e32 v17, v17, v23
	v_add_f32_e32 v42, v16, v25
	v_sub_f32_e32 v44, v16, v25
	v_add_f32_e32 v6, v6, v16
	v_add_f32_e32 v16, v20, v19
	;; [unrolled: 1-line block ×3, first 2 shown]
	v_sub_f32_e32 v45, v19, v21
	v_add_f32_e32 v47, v13, v7
	v_sub_f32_e32 v48, v18, v4
	v_sub_f32_e32 v49, v13, v7
	;; [unrolled: 1-line block ×6, first 2 shown]
	v_mul_f32_e32 v19, 0xbf0a6770, v17
	v_mul_f32_e32 v20, 0xbf0a6770, v24
	v_mul_f32_e32 v58, 0xbf68dda4, v17
	v_mul_f32_e32 v59, 0xbf68dda4, v24
	v_mul_f32_e32 v60, 0xbf7d64f0, v17
	v_mul_f32_e32 v61, 0xbf7d64f0, v24
	v_mul_f32_e32 v62, 0xbf4178ce, v17
	v_mul_f32_e32 v63, 0xbf4178ce, v24
	v_add_f32_e32 v6, v6, v18
	v_add_f32_e32 v13, v16, v13
	v_mul_f32_e32 v17, 0xbe903f40, v17
	v_mul_f32_e32 v24, 0xbe903f40, v24
	v_add_f32_e32 v46, v18, v4
	v_add_f32_e32 v50, v12, v10
	;; [unrolled: 1-line block ×5, first 2 shown]
	v_mul_f32_e32 v64, 0xbf68dda4, v45
	v_mul_f32_e32 v65, 0xbf68dda4, v44
	;; [unrolled: 1-line block ×40, first 2 shown]
	v_fma_f32 v16, 0x3f575c64, v22, -v19
	v_fmamk_f32 v18, v27, 0x3f575c64, v20
	v_fmac_f32_e32 v19, 0x3f575c64, v22
	v_fma_f32 v20, 0x3f575c64, v27, -v20
	v_fma_f32 v96, 0x3ed4b147, v22, -v58
	v_fmamk_f32 v97, v27, 0x3ed4b147, v59
	v_fmac_f32_e32 v58, 0x3ed4b147, v22
	v_fma_f32 v59, 0x3ed4b147, v27, -v59
	;; [unrolled: 4-line block ×3, first 2 shown]
	v_fma_f32 v100, 0xbf27a4f4, v22, -v62
	v_fmamk_f32 v101, v27, 0xbf27a4f4, v63
	v_add_f32_e32 v6, v6, v12
	v_add_f32_e32 v12, v13, v15
	v_fmac_f32_e32 v62, 0xbf27a4f4, v22
	v_fma_f32 v63, 0xbf27a4f4, v27, -v63
	v_fma_f32 v102, 0xbf75a155, v22, -v17
	v_fmamk_f32 v103, v27, 0xbf75a155, v24
	v_fmac_f32_e32 v17, 0xbf75a155, v22
	v_fma_f32 v22, 0xbf75a155, v27, -v24
	v_fma_f32 v24, 0x3ed4b147, v42, -v64
	v_fmamk_f32 v27, v43, 0x3ed4b147, v65
	;; [unrolled: 4-line block ×16, first 2 shown]
	v_fmac_f32_e32 v53, 0x3ed4b147, v50
	v_fma_f32 v50, 0x3ed4b147, v51, -v52
	v_fma_f32 v51, 0xbf75a155, v54, -v88
	v_fmac_f32_e32 v88, 0xbf75a155, v54
	v_fma_f32 v52, 0x3f575c64, v54, -v89
	v_fmac_f32_e32 v89, 0x3f575c64, v54
	;; [unrolled: 2-line block ×5, first 2 shown]
	v_fmamk_f32 v54, v57, 0xbf75a155, v92
	v_fma_f32 v92, 0xbf75a155, v57, -v92
	v_fmamk_f32 v131, v57, 0x3f575c64, v93
	v_fma_f32 v93, 0x3f575c64, v57, -v93
	;; [unrolled: 2-line block ×5, first 2 shown]
	v_add_f32_e32 v16, v16, v0
	v_add_f32_e32 v18, v18, v1
	;; [unrolled: 1-line block ×110, first 2 shown]
	ds_write2_b64 v41, v[6:7], v[10:11] offset0:26 offset1:39
	v_add_f32_e32 v6, v22, v26
	v_add_f32_e32 v7, v24, v23
	ds_write2_b64 v41, v[14:15], v[18:19] offset0:52 offset1:65
	ds_write2_b64 v41, v[20:21], v[16:17] offset0:78 offset1:91
	;; [unrolled: 1-line block ×3, first 2 shown]
	ds_write_b64 v41, v[0:1] offset:1040
	ds_write2_b64 v41, v[6:7], v[4:5] offset1:13
	s_waitcnt lgkmcnt(0)
	s_barrier
	buffer_gl0_inv
	ds_read2_b64 v[12:15], v40 offset0:143 offset1:169
	ds_read2_b64 v[4:7], v40 offset0:26 offset1:52
	;; [unrolled: 1-line block ×4, first 2 shown]
	ds_read_b64 v[20:21], v39
	ds_read_b64 v[22:23], v40 offset:1976
	s_and_saveexec_b32 s1, s0
	s_cbranch_execz .LBB0_25
; %bb.24:
	v_add_nc_u32_e32 v0, 0x400, v40
	v_add_nc_u32_e32 v33, 0x82, v32
	ds_read2_b64 v[0:3], v0 offset0:2 offset1:145
.LBB0_25:
	s_or_b32 exec_lo, exec_lo, s1
	v_add_co_u32 v24, s1, s12, v34
	v_add_co_ci_u32_e64 v25, s1, s13, v35, s1
	v_add_co_u32 v26, s1, s12, v36
	v_add_co_ci_u32_e64 v27, s1, s13, v37, s1
	s_clause 0x4
	global_load_dwordx2 v[24:25], v[24:25], off offset:1040
	global_load_dwordx2 v[34:35], v[26:27], off offset:1248
	;; [unrolled: 1-line block ×5, first 2 shown]
	s_waitcnt vmcnt(0) lgkmcnt(0)
	s_barrier
	buffer_gl0_inv
	v_mul_f32_e32 v39, v25, v13
	v_mul_f32_e32 v25, v25, v12
	;; [unrolled: 1-line block ×10, first 2 shown]
	v_fma_f32 v12, v24, v12, -v39
	v_fmac_f32_e32 v25, v24, v13
	v_fma_f32 v14, v34, v14, -v43
	v_fmac_f32_e32 v35, v34, v15
	;; [unrolled: 2-line block ×5, first 2 shown]
	v_sub_f32_e32 v12, v20, v12
	v_sub_f32_e32 v13, v21, v25
	;; [unrolled: 1-line block ×10, first 2 shown]
	v_fma_f32 v20, v20, 2.0, -v12
	v_fma_f32 v21, v21, 2.0, -v13
	;; [unrolled: 1-line block ×10, first 2 shown]
	ds_write2_b64 v40, v[14:15], v[16:17] offset0:169 offset1:195
	ds_write2_b64 v40, v[20:21], v[4:5] offset1:26
	ds_write2_b64 v40, v[6:7], v[8:9] offset0:52 offset1:78
	ds_write2_b64 v40, v[10:11], v[12:13] offset0:104 offset1:143
	;; [unrolled: 1-line block ×3, first 2 shown]
	s_and_saveexec_b32 s1, s0
	s_cbranch_execz .LBB0_27
; %bb.26:
	v_mov_b32_e32 v34, 0
	v_lshlrev_b64 v[4:5], 3, v[33:34]
	v_add_co_u32 v4, s0, s12, v4
	v_add_co_ci_u32_e64 v5, s0, s13, v5, s0
	global_load_dwordx2 v[4:5], v[4:5], off offset:1040
	s_waitcnt vmcnt(0)
	v_mul_f32_e32 v6, v2, v5
	v_mul_f32_e32 v5, v3, v5
	v_fmac_f32_e32 v6, v3, v4
	v_fma_f32 v2, v2, v4, -v5
	v_add_nc_u32_e32 v4, 0x400, v40
	v_sub_f32_e32 v3, v1, v6
	v_sub_f32_e32 v2, v0, v2
	v_fma_f32 v1, v1, 2.0, -v3
	v_fma_f32 v0, v0, 2.0, -v2
	ds_write2_b64 v4, v[0:1], v[2:3] offset0:2 offset1:145
.LBB0_27:
	s_or_b32 exec_lo, exec_lo, s1
	s_waitcnt lgkmcnt(0)
	s_barrier
	buffer_gl0_inv
	s_and_saveexec_b32 s0, vcc_lo
	s_cbranch_execz .LBB0_29
; %bb.28:
	v_mul_lo_u32 v0, s3, v30
	v_mul_lo_u32 v1, s2, v31
	v_mad_u64_u32 v[4:5], null, s2, v30, 0
	v_lshl_add_u32 v18, v32, 3, v38
	v_mov_b32_e32 v33, 0
	v_lshlrev_b64 v[8:9], 3, v[28:29]
	v_add_nc_u32_e32 v10, 26, v32
	v_add_nc_u32_e32 v12, 52, v32
	v_add3_u32 v5, v5, v1, v0
	ds_read2_b64 v[0:3], v18 offset1:26
	v_mov_b32_e32 v11, v33
	v_lshlrev_b64 v[16:17], 3, v[32:33]
	v_mov_b32_e32 v13, v33
	v_lshlrev_b64 v[14:15], 3, v[4:5]
	ds_read2_b64 v[4:7], v18 offset0:52 offset1:78
	v_lshlrev_b64 v[10:11], 3, v[10:11]
	v_add_co_u32 v14, vcc_lo, s10, v14
	v_add_co_ci_u32_e32 v15, vcc_lo, s11, v15, vcc_lo
	v_add_co_u32 v20, vcc_lo, v14, v8
	v_add_co_ci_u32_e32 v21, vcc_lo, v15, v9, vcc_lo
	v_lshlrev_b64 v[8:9], 3, v[12:13]
	v_add_co_u32 v12, vcc_lo, v20, v16
	v_add_co_ci_u32_e32 v13, vcc_lo, v21, v17, vcc_lo
	v_add_co_u32 v10, vcc_lo, v20, v10
	v_add_co_ci_u32_e32 v11, vcc_lo, v21, v11, vcc_lo
	s_waitcnt lgkmcnt(1)
	global_store_dwordx2 v[12:13], v[0:1], off
	v_add_co_u32 v0, vcc_lo, v20, v8
	v_add_co_ci_u32_e32 v1, vcc_lo, v21, v9, vcc_lo
	v_add_nc_u32_e32 v8, 0x4e, v32
	v_mov_b32_e32 v9, v33
	global_store_dwordx2 v[10:11], v[2:3], off
	s_waitcnt lgkmcnt(0)
	global_store_dwordx2 v[0:1], v[4:5], off
	v_add_nc_u32_e32 v12, 0x68, v32
	v_mov_b32_e32 v13, v33
	ds_read2_b64 v[0:3], v18 offset0:104 offset1:130
	v_lshlrev_b64 v[4:5], 3, v[8:9]
	v_add_nc_u32_e32 v10, 0x82, v32
	v_mov_b32_e32 v11, v33
	v_lshlrev_b64 v[8:9], 3, v[12:13]
	v_add_nc_u32_e32 v12, 0x9c, v32
	v_add_nc_u32_e32 v14, 0xea, v32
	v_add_co_u32 v4, vcc_lo, v20, v4
	v_lshlrev_b64 v[10:11], 3, v[10:11]
	v_add_co_ci_u32_e32 v5, vcc_lo, v21, v5, vcc_lo
	v_add_co_u32 v8, vcc_lo, v20, v8
	v_add_co_ci_u32_e32 v9, vcc_lo, v21, v9, vcc_lo
	v_add_co_u32 v10, vcc_lo, v20, v10
	v_add_co_ci_u32_e32 v11, vcc_lo, v21, v11, vcc_lo
	global_store_dwordx2 v[4:5], v[6:7], off
	s_waitcnt lgkmcnt(0)
	global_store_dwordx2 v[8:9], v[0:1], off
	global_store_dwordx2 v[10:11], v[2:3], off
	v_lshlrev_b64 v[4:5], 3, v[12:13]
	v_add_nc_u32_e32 v6, 0xb6, v32
	v_mov_b32_e32 v7, v33
	ds_read2_b64 v[0:3], v18 offset0:156 offset1:182
	v_add_nc_u32_e32 v8, 0xd0, v32
	v_mov_b32_e32 v9, v33
	v_add_co_u32 v10, vcc_lo, v20, v4
	v_add_co_ci_u32_e32 v11, vcc_lo, v21, v5, vcc_lo
	v_lshlrev_b64 v[12:13], 3, v[6:7]
	ds_read2_b64 v[4:7], v18 offset0:208 offset1:234
	v_mov_b32_e32 v15, v33
	ds_read_b64 v[16:17], v18 offset:2080
	v_lshlrev_b64 v[8:9], 3, v[8:9]
	v_add_nc_u32_e32 v32, 0x104, v32
	v_add_co_u32 v12, vcc_lo, v20, v12
	v_lshlrev_b64 v[14:15], 3, v[14:15]
	v_add_co_ci_u32_e32 v13, vcc_lo, v21, v13, vcc_lo
	v_add_co_u32 v8, vcc_lo, v20, v8
	v_lshlrev_b64 v[18:19], 3, v[32:33]
	v_add_co_ci_u32_e32 v9, vcc_lo, v21, v9, vcc_lo
	v_add_co_u32 v14, vcc_lo, v20, v14
	v_add_co_ci_u32_e32 v15, vcc_lo, v21, v15, vcc_lo
	v_add_co_u32 v18, vcc_lo, v20, v18
	v_add_co_ci_u32_e32 v19, vcc_lo, v21, v19, vcc_lo
	s_waitcnt lgkmcnt(2)
	global_store_dwordx2 v[10:11], v[0:1], off
	global_store_dwordx2 v[12:13], v[2:3], off
	s_waitcnt lgkmcnt(1)
	global_store_dwordx2 v[8:9], v[4:5], off
	global_store_dwordx2 v[14:15], v[6:7], off
	s_waitcnt lgkmcnt(0)
	global_store_dwordx2 v[18:19], v[16:17], off
.LBB0_29:
	s_endpgm
	.section	.rodata,"a",@progbits
	.p2align	6, 0x0
	.amdhsa_kernel fft_rtc_fwd_len286_factors_13_11_2_wgs_52_tpt_26_sp_op_CI_CI_unitstride_sbrr_C2R_dirReg
		.amdhsa_group_segment_fixed_size 0
		.amdhsa_private_segment_fixed_size 0
		.amdhsa_kernarg_size 104
		.amdhsa_user_sgpr_count 6
		.amdhsa_user_sgpr_private_segment_buffer 1
		.amdhsa_user_sgpr_dispatch_ptr 0
		.amdhsa_user_sgpr_queue_ptr 0
		.amdhsa_user_sgpr_kernarg_segment_ptr 1
		.amdhsa_user_sgpr_dispatch_id 0
		.amdhsa_user_sgpr_flat_scratch_init 0
		.amdhsa_user_sgpr_private_segment_size 0
		.amdhsa_wavefront_size32 1
		.amdhsa_uses_dynamic_stack 0
		.amdhsa_system_sgpr_private_segment_wavefront_offset 0
		.amdhsa_system_sgpr_workgroup_id_x 1
		.amdhsa_system_sgpr_workgroup_id_y 0
		.amdhsa_system_sgpr_workgroup_id_z 0
		.amdhsa_system_sgpr_workgroup_info 0
		.amdhsa_system_vgpr_workitem_id 0
		.amdhsa_next_free_vgpr 135
		.amdhsa_next_free_sgpr 27
		.amdhsa_reserve_vcc 1
		.amdhsa_reserve_flat_scratch 0
		.amdhsa_float_round_mode_32 0
		.amdhsa_float_round_mode_16_64 0
		.amdhsa_float_denorm_mode_32 3
		.amdhsa_float_denorm_mode_16_64 3
		.amdhsa_dx10_clamp 1
		.amdhsa_ieee_mode 1
		.amdhsa_fp16_overflow 0
		.amdhsa_workgroup_processor_mode 1
		.amdhsa_memory_ordered 1
		.amdhsa_forward_progress 0
		.amdhsa_shared_vgpr_count 0
		.amdhsa_exception_fp_ieee_invalid_op 0
		.amdhsa_exception_fp_denorm_src 0
		.amdhsa_exception_fp_ieee_div_zero 0
		.amdhsa_exception_fp_ieee_overflow 0
		.amdhsa_exception_fp_ieee_underflow 0
		.amdhsa_exception_fp_ieee_inexact 0
		.amdhsa_exception_int_div_zero 0
	.end_amdhsa_kernel
	.text
.Lfunc_end0:
	.size	fft_rtc_fwd_len286_factors_13_11_2_wgs_52_tpt_26_sp_op_CI_CI_unitstride_sbrr_C2R_dirReg, .Lfunc_end0-fft_rtc_fwd_len286_factors_13_11_2_wgs_52_tpt_26_sp_op_CI_CI_unitstride_sbrr_C2R_dirReg
                                        ; -- End function
	.section	.AMDGPU.csdata,"",@progbits
; Kernel info:
; codeLenInByte = 9128
; NumSgprs: 29
; NumVgprs: 135
; ScratchSize: 0
; MemoryBound: 0
; FloatMode: 240
; IeeeMode: 1
; LDSByteSize: 0 bytes/workgroup (compile time only)
; SGPRBlocks: 3
; VGPRBlocks: 16
; NumSGPRsForWavesPerEU: 29
; NumVGPRsForWavesPerEU: 135
; Occupancy: 7
; WaveLimiterHint : 1
; COMPUTE_PGM_RSRC2:SCRATCH_EN: 0
; COMPUTE_PGM_RSRC2:USER_SGPR: 6
; COMPUTE_PGM_RSRC2:TRAP_HANDLER: 0
; COMPUTE_PGM_RSRC2:TGID_X_EN: 1
; COMPUTE_PGM_RSRC2:TGID_Y_EN: 0
; COMPUTE_PGM_RSRC2:TGID_Z_EN: 0
; COMPUTE_PGM_RSRC2:TIDIG_COMP_CNT: 0
	.text
	.p2alignl 6, 3214868480
	.fill 48, 4, 3214868480
	.type	__hip_cuid_12cbc3c3e9872cc2,@object ; @__hip_cuid_12cbc3c3e9872cc2
	.section	.bss,"aw",@nobits
	.globl	__hip_cuid_12cbc3c3e9872cc2
__hip_cuid_12cbc3c3e9872cc2:
	.byte	0                               ; 0x0
	.size	__hip_cuid_12cbc3c3e9872cc2, 1

	.ident	"AMD clang version 19.0.0git (https://github.com/RadeonOpenCompute/llvm-project roc-6.4.0 25133 c7fe45cf4b819c5991fe208aaa96edf142730f1d)"
	.section	".note.GNU-stack","",@progbits
	.addrsig
	.addrsig_sym __hip_cuid_12cbc3c3e9872cc2
	.amdgpu_metadata
---
amdhsa.kernels:
  - .args:
      - .actual_access:  read_only
        .address_space:  global
        .offset:         0
        .size:           8
        .value_kind:     global_buffer
      - .offset:         8
        .size:           8
        .value_kind:     by_value
      - .actual_access:  read_only
        .address_space:  global
        .offset:         16
        .size:           8
        .value_kind:     global_buffer
      - .actual_access:  read_only
        .address_space:  global
        .offset:         24
        .size:           8
        .value_kind:     global_buffer
      - .actual_access:  read_only
        .address_space:  global
        .offset:         32
        .size:           8
        .value_kind:     global_buffer
      - .offset:         40
        .size:           8
        .value_kind:     by_value
      - .actual_access:  read_only
        .address_space:  global
        .offset:         48
        .size:           8
        .value_kind:     global_buffer
      - .actual_access:  read_only
        .address_space:  global
        .offset:         56
        .size:           8
        .value_kind:     global_buffer
      - .offset:         64
        .size:           4
        .value_kind:     by_value
      - .actual_access:  read_only
        .address_space:  global
        .offset:         72
        .size:           8
        .value_kind:     global_buffer
      - .actual_access:  read_only
        .address_space:  global
        .offset:         80
        .size:           8
        .value_kind:     global_buffer
      - .actual_access:  read_only
        .address_space:  global
        .offset:         88
        .size:           8
        .value_kind:     global_buffer
      - .actual_access:  write_only
        .address_space:  global
        .offset:         96
        .size:           8
        .value_kind:     global_buffer
    .group_segment_fixed_size: 0
    .kernarg_segment_align: 8
    .kernarg_segment_size: 104
    .language:       OpenCL C
    .language_version:
      - 2
      - 0
    .max_flat_workgroup_size: 52
    .name:           fft_rtc_fwd_len286_factors_13_11_2_wgs_52_tpt_26_sp_op_CI_CI_unitstride_sbrr_C2R_dirReg
    .private_segment_fixed_size: 0
    .sgpr_count:     29
    .sgpr_spill_count: 0
    .symbol:         fft_rtc_fwd_len286_factors_13_11_2_wgs_52_tpt_26_sp_op_CI_CI_unitstride_sbrr_C2R_dirReg.kd
    .uniform_work_group_size: 1
    .uses_dynamic_stack: false
    .vgpr_count:     135
    .vgpr_spill_count: 0
    .wavefront_size: 32
    .workgroup_processor_mode: 1
amdhsa.target:   amdgcn-amd-amdhsa--gfx1030
amdhsa.version:
  - 1
  - 2
...

	.end_amdgpu_metadata
